;; amdgpu-corpus repo=ROCm/rocFFT kind=compiled arch=gfx1030 opt=O3
	.text
	.amdgcn_target "amdgcn-amd-amdhsa--gfx1030"
	.amdhsa_code_object_version 6
	.protected	fft_rtc_fwd_len936_factors_2_2_13_2_3_3_wgs_234_tpt_78_halfLds_dp_ip_CI_unitstride_sbrr_dirReg ; -- Begin function fft_rtc_fwd_len936_factors_2_2_13_2_3_3_wgs_234_tpt_78_halfLds_dp_ip_CI_unitstride_sbrr_dirReg
	.globl	fft_rtc_fwd_len936_factors_2_2_13_2_3_3_wgs_234_tpt_78_halfLds_dp_ip_CI_unitstride_sbrr_dirReg
	.p2align	8
	.type	fft_rtc_fwd_len936_factors_2_2_13_2_3_3_wgs_234_tpt_78_halfLds_dp_ip_CI_unitstride_sbrr_dirReg,@function
fft_rtc_fwd_len936_factors_2_2_13_2_3_3_wgs_234_tpt_78_halfLds_dp_ip_CI_unitstride_sbrr_dirReg: ; @fft_rtc_fwd_len936_factors_2_2_13_2_3_3_wgs_234_tpt_78_halfLds_dp_ip_CI_unitstride_sbrr_dirReg
; %bb.0:
	s_load_dwordx4 s[8:11], s[4:5], 0x0
	v_mul_u32_u24_e32 v1, 0x349, v0
	s_clause 0x1
	s_load_dwordx2 s[2:3], s[4:5], 0x50
	s_load_dwordx2 s[12:13], s[4:5], 0x18
	v_lshrrev_b32_e32 v2, 16, v1
	v_mov_b32_e32 v1, 0
	v_mad_u64_u32 v[48:49], null, s6, 3, v[2:3]
	v_mov_b32_e32 v49, v1
	v_mov_b32_e32 v3, 0
	;; [unrolled: 1-line block ×4, first 2 shown]
	s_waitcnt lgkmcnt(0)
	v_cmp_lt_u64_e64 s0, s[10:11], 2
	v_mov_b32_e32 v8, v49
	s_and_b32 vcc_lo, exec_lo, s0
	s_cbranch_vccnz .LBB0_8
; %bb.1:
	s_load_dwordx2 s[0:1], s[4:5], 0x10
	v_mov_b32_e32 v3, 0
	v_mov_b32_e32 v5, v48
	s_add_u32 s6, s12, 8
	v_mov_b32_e32 v4, 0
	v_mov_b32_e32 v6, v49
	s_addc_u32 s7, s13, 0
	s_mov_b64 s[16:17], 1
	s_waitcnt lgkmcnt(0)
	s_add_u32 s14, s0, 8
	s_addc_u32 s15, s1, 0
.LBB0_2:                                ; =>This Inner Loop Header: Depth=1
	s_load_dwordx2 s[18:19], s[14:15], 0x0
                                        ; implicit-def: $vgpr7_vgpr8
	s_mov_b32 s0, exec_lo
	s_waitcnt lgkmcnt(0)
	v_or_b32_e32 v2, s19, v6
	v_cmpx_ne_u64_e32 0, v[1:2]
	s_xor_b32 s1, exec_lo, s0
	s_cbranch_execz .LBB0_4
; %bb.3:                                ;   in Loop: Header=BB0_2 Depth=1
	v_cvt_f32_u32_e32 v2, s18
	v_cvt_f32_u32_e32 v7, s19
	s_sub_u32 s0, 0, s18
	s_subb_u32 s20, 0, s19
	v_fmac_f32_e32 v2, 0x4f800000, v7
	v_rcp_f32_e32 v2, v2
	v_mul_f32_e32 v2, 0x5f7ffffc, v2
	v_mul_f32_e32 v7, 0x2f800000, v2
	v_trunc_f32_e32 v7, v7
	v_fmac_f32_e32 v2, 0xcf800000, v7
	v_cvt_u32_f32_e32 v7, v7
	v_cvt_u32_f32_e32 v2, v2
	v_mul_lo_u32 v8, s0, v7
	v_mul_hi_u32 v9, s0, v2
	v_mul_lo_u32 v10, s20, v2
	v_add_nc_u32_e32 v8, v9, v8
	v_mul_lo_u32 v9, s0, v2
	v_add_nc_u32_e32 v8, v8, v10
	v_mul_hi_u32 v10, v2, v9
	v_mul_lo_u32 v11, v2, v8
	v_mul_hi_u32 v12, v2, v8
	v_mul_hi_u32 v13, v7, v9
	v_mul_lo_u32 v9, v7, v9
	v_mul_hi_u32 v14, v7, v8
	v_mul_lo_u32 v8, v7, v8
	v_add_co_u32 v10, vcc_lo, v10, v11
	v_add_co_ci_u32_e32 v11, vcc_lo, 0, v12, vcc_lo
	v_add_co_u32 v9, vcc_lo, v10, v9
	v_add_co_ci_u32_e32 v9, vcc_lo, v11, v13, vcc_lo
	v_add_co_ci_u32_e32 v10, vcc_lo, 0, v14, vcc_lo
	v_add_co_u32 v8, vcc_lo, v9, v8
	v_add_co_ci_u32_e32 v9, vcc_lo, 0, v10, vcc_lo
	v_add_co_u32 v2, vcc_lo, v2, v8
	v_add_co_ci_u32_e32 v7, vcc_lo, v7, v9, vcc_lo
	v_mul_hi_u32 v8, s0, v2
	v_mul_lo_u32 v10, s20, v2
	v_mul_lo_u32 v9, s0, v7
	v_add_nc_u32_e32 v8, v8, v9
	v_mul_lo_u32 v9, s0, v2
	v_add_nc_u32_e32 v8, v8, v10
	v_mul_hi_u32 v10, v2, v9
	v_mul_lo_u32 v11, v2, v8
	v_mul_hi_u32 v12, v2, v8
	v_mul_hi_u32 v13, v7, v9
	v_mul_lo_u32 v9, v7, v9
	v_mul_hi_u32 v14, v7, v8
	v_mul_lo_u32 v8, v7, v8
	v_add_co_u32 v10, vcc_lo, v10, v11
	v_add_co_ci_u32_e32 v11, vcc_lo, 0, v12, vcc_lo
	v_add_co_u32 v9, vcc_lo, v10, v9
	v_add_co_ci_u32_e32 v9, vcc_lo, v11, v13, vcc_lo
	v_add_co_ci_u32_e32 v10, vcc_lo, 0, v14, vcc_lo
	v_add_co_u32 v8, vcc_lo, v9, v8
	v_add_co_ci_u32_e32 v9, vcc_lo, 0, v10, vcc_lo
	v_add_co_u32 v2, vcc_lo, v2, v8
	v_add_co_ci_u32_e32 v11, vcc_lo, v7, v9, vcc_lo
	v_mul_hi_u32 v13, v5, v2
	v_mad_u64_u32 v[9:10], null, v6, v2, 0
	v_mad_u64_u32 v[7:8], null, v5, v11, 0
	v_mad_u64_u32 v[11:12], null, v6, v11, 0
	v_add_co_u32 v2, vcc_lo, v13, v7
	v_add_co_ci_u32_e32 v7, vcc_lo, 0, v8, vcc_lo
	v_add_co_u32 v2, vcc_lo, v2, v9
	v_add_co_ci_u32_e32 v2, vcc_lo, v7, v10, vcc_lo
	v_add_co_ci_u32_e32 v7, vcc_lo, 0, v12, vcc_lo
	v_add_co_u32 v2, vcc_lo, v2, v11
	v_add_co_ci_u32_e32 v9, vcc_lo, 0, v7, vcc_lo
	v_mul_lo_u32 v10, s19, v2
	v_mad_u64_u32 v[7:8], null, s18, v2, 0
	v_mul_lo_u32 v11, s18, v9
	v_sub_co_u32 v7, vcc_lo, v5, v7
	v_add3_u32 v8, v8, v11, v10
	v_sub_nc_u32_e32 v10, v6, v8
	v_subrev_co_ci_u32_e64 v10, s0, s19, v10, vcc_lo
	v_add_co_u32 v11, s0, v2, 2
	v_add_co_ci_u32_e64 v12, s0, 0, v9, s0
	v_sub_co_u32 v13, s0, v7, s18
	v_sub_co_ci_u32_e32 v8, vcc_lo, v6, v8, vcc_lo
	v_subrev_co_ci_u32_e64 v10, s0, 0, v10, s0
	v_cmp_le_u32_e32 vcc_lo, s18, v13
	v_cmp_eq_u32_e64 s0, s19, v8
	v_cndmask_b32_e64 v13, 0, -1, vcc_lo
	v_cmp_le_u32_e32 vcc_lo, s19, v10
	v_cndmask_b32_e64 v14, 0, -1, vcc_lo
	v_cmp_le_u32_e32 vcc_lo, s18, v7
	;; [unrolled: 2-line block ×3, first 2 shown]
	v_cndmask_b32_e64 v15, 0, -1, vcc_lo
	v_cmp_eq_u32_e32 vcc_lo, s19, v10
	v_cndmask_b32_e64 v7, v15, v7, s0
	v_cndmask_b32_e32 v10, v14, v13, vcc_lo
	v_add_co_u32 v13, vcc_lo, v2, 1
	v_add_co_ci_u32_e32 v14, vcc_lo, 0, v9, vcc_lo
	v_cmp_ne_u32_e32 vcc_lo, 0, v10
	v_cndmask_b32_e32 v8, v14, v12, vcc_lo
	v_cndmask_b32_e32 v10, v13, v11, vcc_lo
	v_cmp_ne_u32_e32 vcc_lo, 0, v7
	v_cndmask_b32_e32 v8, v9, v8, vcc_lo
	v_cndmask_b32_e32 v7, v2, v10, vcc_lo
.LBB0_4:                                ;   in Loop: Header=BB0_2 Depth=1
	s_andn2_saveexec_b32 s0, s1
	s_cbranch_execz .LBB0_6
; %bb.5:                                ;   in Loop: Header=BB0_2 Depth=1
	v_cvt_f32_u32_e32 v2, s18
	s_sub_i32 s1, 0, s18
	v_rcp_iflag_f32_e32 v2, v2
	v_mul_f32_e32 v2, 0x4f7ffffe, v2
	v_cvt_u32_f32_e32 v2, v2
	v_mul_lo_u32 v7, s1, v2
	v_mul_hi_u32 v7, v2, v7
	v_add_nc_u32_e32 v2, v2, v7
	v_mul_hi_u32 v2, v5, v2
	v_mul_lo_u32 v7, v2, s18
	v_add_nc_u32_e32 v8, 1, v2
	v_sub_nc_u32_e32 v7, v5, v7
	v_subrev_nc_u32_e32 v9, s18, v7
	v_cmp_le_u32_e32 vcc_lo, s18, v7
	v_cndmask_b32_e32 v7, v7, v9, vcc_lo
	v_cndmask_b32_e32 v2, v2, v8, vcc_lo
	v_cmp_le_u32_e32 vcc_lo, s18, v7
	v_add_nc_u32_e32 v8, 1, v2
	v_cndmask_b32_e32 v7, v2, v8, vcc_lo
	v_mov_b32_e32 v8, v1
.LBB0_6:                                ;   in Loop: Header=BB0_2 Depth=1
	s_or_b32 exec_lo, exec_lo, s0
	s_load_dwordx2 s[0:1], s[6:7], 0x0
	v_mul_lo_u32 v2, v8, s18
	v_mul_lo_u32 v11, v7, s19
	v_mad_u64_u32 v[9:10], null, v7, s18, 0
	s_add_u32 s16, s16, 1
	s_addc_u32 s17, s17, 0
	s_add_u32 s6, s6, 8
	s_addc_u32 s7, s7, 0
	;; [unrolled: 2-line block ×3, first 2 shown]
	v_add3_u32 v2, v10, v11, v2
	v_sub_co_u32 v5, vcc_lo, v5, v9
	v_sub_co_ci_u32_e32 v2, vcc_lo, v6, v2, vcc_lo
	s_waitcnt lgkmcnt(0)
	v_mul_lo_u32 v6, s1, v5
	v_mul_lo_u32 v2, s0, v2
	v_mad_u64_u32 v[3:4], null, s0, v5, v[3:4]
	v_cmp_ge_u64_e64 s0, s[16:17], s[10:11]
	s_and_b32 vcc_lo, exec_lo, s0
	v_add3_u32 v4, v6, v4, v2
	s_cbranch_vccnz .LBB0_8
; %bb.7:                                ;   in Loop: Header=BB0_2 Depth=1
	v_mov_b32_e32 v5, v7
	v_mov_b32_e32 v6, v8
	s_branch .LBB0_2
.LBB0_8:
	s_lshl_b64 s[0:1], s[10:11], 3
                                        ; implicit-def: $vgpr42_vgpr43
                                        ; implicit-def: $vgpr30_vgpr31
                                        ; implicit-def: $vgpr38_vgpr39
                                        ; implicit-def: $vgpr26_vgpr27
                                        ; implicit-def: $vgpr34_vgpr35
                                        ; implicit-def: $vgpr10_vgpr11
                                        ; implicit-def: $vgpr22_vgpr23
                                        ; implicit-def: $vgpr18_vgpr19
                                        ; implicit-def: $vgpr46_vgpr47
                                        ; implicit-def: $vgpr14_vgpr15
	s_add_u32 s0, s12, s0
	s_addc_u32 s1, s13, s1
	s_load_dwordx2 s[0:1], s[0:1], 0x0
	s_load_dwordx2 s[4:5], s[4:5], 0x20
	s_waitcnt lgkmcnt(0)
	v_mul_lo_u32 v5, s0, v8
	v_mul_lo_u32 v6, s1, v7
	v_mad_u64_u32 v[1:2], null, s0, v7, v[3:4]
	v_mul_hi_u32 v3, 0x3483484, v0
	v_cmp_gt_u64_e32 vcc_lo, s[4:5], v[7:8]
	v_add3_u32 v2, v6, v2, v5
                                        ; implicit-def: $vgpr6_vgpr7
	v_mul_u32_u24_e32 v3, 0x4e, v3
	v_lshlrev_b64 v[62:63], 4, v[1:2]
	v_sub_nc_u32_e32 v60, v0, v3
                                        ; implicit-def: $vgpr2_vgpr3
	s_and_saveexec_b32 s1, vcc_lo
	s_cbranch_execz .LBB0_10
; %bb.9:
	v_mov_b32_e32 v61, 0
	v_add_co_u32 v2, s0, s2, v62
	v_add_co_ci_u32_e64 v3, s0, s3, v63, s0
	v_lshlrev_b64 v[0:1], 4, v[60:61]
	v_add_co_u32 v24, s0, v2, v0
	v_add_co_ci_u32_e64 v25, s0, v3, v1, s0
	v_add_co_u32 v28, s0, 0x1800, v24
	v_add_co_ci_u32_e64 v29, s0, 0, v25, s0
	;; [unrolled: 2-line block ×7, first 2 shown]
	s_clause 0xb
	global_load_dwordx4 v[12:15], v[24:25], off
	global_load_dwordx4 v[0:3], v[24:25], off offset:1248
	global_load_dwordx4 v[16:19], v[4:5], off offset:544
	global_load_dwordx4 v[20:23], v[4:5], off offset:1792
	global_load_dwordx4 v[4:7], v[8:9], off offset:448
	global_load_dwordx4 v[8:11], v[8:9], off offset:1696
	global_load_dwordx4 v[32:35], v[26:27], off offset:992
	global_load_dwordx4 v[24:27], v[30:31], off offset:896
	global_load_dwordx4 v[44:47], v[28:29], off offset:1344
	global_load_dwordx4 v[28:31], v[28:29], off offset:96
	global_load_dwordx4 v[36:39], v[40:41], off offset:192
	global_load_dwordx4 v[40:43], v[40:41], off offset:1440
.LBB0_10:
	s_or_b32 exec_lo, exec_lo, s1
	s_waitcnt vmcnt(3)
	v_add_f64 v[49:50], v[12:13], -v[44:45]
	v_mul_hi_u32 v44, 0xaaaaaaab, v48
	v_add_f64 v[53:54], v[0:1], -v[16:17]
	v_add_f64 v[66:67], v[8:9], -v[32:33]
	v_add_f64 v[57:58], v[4:5], -v[20:21]
	s_waitcnt vmcnt(1)
	v_add_f64 v[70:71], v[24:25], -v[36:37]
	s_waitcnt vmcnt(0)
	v_add_f64 v[74:75], v[28:29], -v[40:41]
	v_add_f64 v[42:43], v[30:31], -v[42:43]
	;; [unrolled: 1-line block ×3, first 2 shown]
	v_lshrrev_b32_e32 v16, 1, v44
	v_add_nc_u32_e32 v88, 0x4e, v60
	v_add_nc_u32_e32 v85, 0x9c, v60
	v_add_nc_u32_e32 v84, 0xea, v60
	v_add_nc_u32_e32 v89, 0x138, v60
	v_lshl_add_u32 v20, v16, 1, v16
	v_add_f64 v[16:17], v[14:15], -v[46:47]
	v_add_nc_u32_e32 v90, 0x186, v60
	v_and_b32_e32 v77, 1, v60
	v_lshlrev_b32_e32 v78, 1, v89
	v_sub_nc_u32_e32 v20, v48, v20
	v_cmp_gt_u32_e64 s0, 0x48, v60
	v_lshlrev_b32_e32 v79, 1, v90
	v_fma_f64 v[47:48], v[12:13], 2.0, -v[49:50]
	v_add_f64 v[12:13], v[10:11], -v[34:35]
	v_fma_f64 v[51:52], v[0:1], 2.0, -v[53:54]
	v_mul_u32_u24_e32 v0, 0x3a8, v20
	v_add_f64 v[20:21], v[2:3], -v[18:19]
	v_fma_f64 v[64:65], v[8:9], 2.0, -v[66:67]
	v_add_f64 v[8:9], v[6:7], -v[22:23]
	v_fma_f64 v[55:56], v[4:5], 2.0, -v[57:58]
	v_fma_f64 v[68:69], v[24:25], 2.0, -v[70:71]
	;; [unrolled: 1-line block ×4, first 2 shown]
	v_lshlrev_b32_e32 v87, 3, v0
	v_fma_f64 v[36:37], v[26:27], 2.0, -v[38:39]
	v_lshlrev_b32_e32 v0, 3, v60
	v_and_or_b32 v91, 0x7fc, v79, v77
	v_fma_f64 v[14:15], v[14:15], 2.0, -v[16:17]
	v_add_nc_u32_e32 v82, 0, v87
	v_add3_u32 v86, 0, v0, v87
	v_lshl_add_u32 v1, v60, 4, v82
	v_add_nc_u32_e32 v61, v82, v0
	v_fma_f64 v[10:11], v[10:11], 2.0, -v[12:13]
	v_lshl_add_u32 v4, v88, 4, v82
	v_lshl_add_u32 v5, v85, 4, v82
	v_fma_f64 v[18:19], v[2:3], 2.0, -v[20:21]
	v_add_nc_u32_e32 v3, 0x800, v86
	v_fma_f64 v[6:7], v[6:7], 2.0, -v[8:9]
	v_lshl_add_u32 v44, v84, 4, v82
	v_lshl_add_u32 v45, v89, 4, v82
	v_add_nc_u32_e32 v2, 0x1000, v86
	v_lshl_add_u32 v46, v90, 4, v82
	ds_write_b128 v1, v[47:50]
	ds_write_b128 v4, v[51:54]
	;; [unrolled: 1-line block ×6, first 2 shown]
	s_waitcnt lgkmcnt(0)
	s_barrier
	buffer_gl0_inv
	v_add_nc_u32_e32 v76, 0x400, v86
	v_add_nc_u32_e32 v0, 0x1400, v86
	ds_read_b64 v[22:23], v61
	ds_read_b64 v[70:71], v86 offset:6864
	ds_read2_b64 v[32:35], v3 offset0:134 offset1:212
	ds_read2_b64 v[52:55], v86 offset0:78 offset1:156
	;; [unrolled: 1-line block ×5, first 2 shown]
	s_waitcnt lgkmcnt(0)
	s_barrier
	buffer_gl0_inv
	ds_write_b128 v1, v[14:17]
	v_lshlrev_b32_e32 v1, 4, v77
	ds_write_b128 v4, v[18:21]
	ds_write_b128 v5, v[6:9]
	;; [unrolled: 1-line block ×5, first 2 shown]
	s_waitcnt lgkmcnt(0)
	s_barrier
	buffer_gl0_inv
	global_load_dwordx4 v[36:39], v1, s[8:9]
	ds_read2_b64 v[48:51], v3 offset0:134 offset1:212
	ds_read2_b64 v[44:47], v2 offset0:34 offset1:112
	;; [unrolled: 1-line block ×3, first 2 shown]
	ds_read_b64 v[74:75], v86 offset:6864
	ds_read_b64 v[72:73], v61
	v_lshlrev_b32_e32 v67, 1, v60
	v_lshlrev_b32_e32 v64, 1, v88
	;; [unrolled: 1-line block ×4, first 2 shown]
	v_and_or_b32 v80, 0xfc, v67, v77
	v_and_or_b32 v81, 0x3fc, v65, v77
	;; [unrolled: 1-line block ×3, first 2 shown]
	v_lshl_add_u32 v79, v81, 3, v82
	s_waitcnt vmcnt(0) lgkmcnt(4)
	v_mul_f64 v[0:1], v[50:51], v[38:39]
	s_waitcnt lgkmcnt(3)
	v_mul_f64 v[4:5], v[44:45], v[38:39]
	v_mul_f64 v[6:7], v[46:47], v[38:39]
	s_waitcnt lgkmcnt(2)
	v_mul_f64 v[8:9], v[40:41], v[38:39]
	;; [unrolled: 3-line block ×3, first 2 shown]
	v_fma_f64 v[0:1], v[34:35], v[36:37], -v[0:1]
	v_fma_f64 v[4:5], v[28:29], v[36:37], -v[4:5]
	;; [unrolled: 1-line block ×6, first 2 shown]
	v_add_f64 v[8:9], v[22:23], -v[0:1]
	v_add_f64 v[20:21], v[52:53], -v[4:5]
	;; [unrolled: 1-line block ×6, first 2 shown]
	v_fma_f64 v[68:69], v[22:23], 2.0, -v[8:9]
	v_fma_f64 v[10:11], v[52:53], 2.0, -v[20:21]
	;; [unrolled: 1-line block ×6, first 2 shown]
	ds_read2_b64 v[56:59], v86 offset0:78 offset1:156
	ds_read2_b64 v[52:55], v76 offset0:106 offset1:184
	v_and_or_b32 v32, 0x3fc, v78, v77
	v_and_or_b32 v33, 0x1fc, v64, v77
	v_lshl_add_u32 v77, v80, 3, v82
	v_lshl_add_u32 v80, v83, 3, v82
	s_waitcnt lgkmcnt(0)
	v_lshl_add_u32 v81, v32, 3, v82
	v_lshl_add_u32 v78, v33, 3, v82
	;; [unrolled: 1-line block ×3, first 2 shown]
	s_barrier
	buffer_gl0_inv
	ds_write2_b64 v77, v[68:69], v[8:9] offset1:2
	ds_write2_b64 v78, v[10:11], v[20:21] offset1:2
	;; [unrolled: 1-line block ×6, first 2 shown]
	s_waitcnt lgkmcnt(0)
	s_barrier
	buffer_gl0_inv
	s_and_saveexec_b32 s1, s0
	s_cbranch_execz .LBB0_12
; %bb.11:
	v_add_nc_u32_e32 v0, 0xc00, v86
	v_add_nc_u32_e32 v1, 0x1800, v86
	ds_read_b64 v[68:69], v61
	ds_read2_b64 v[8:11], v86 offset0:72 offset1:144
	ds_read2_b64 v[20:23], v76 offset0:88 offset1:160
	;; [unrolled: 1-line block ×6, first 2 shown]
.LBB0_12:
	s_or_b32 exec_lo, exec_lo, s1
	v_mul_f64 v[32:33], v[34:35], v[38:39]
	v_mul_f64 v[28:29], v[28:29], v[38:39]
	;; [unrolled: 1-line block ×6, first 2 shown]
	s_waitcnt lgkmcnt(0)
	s_barrier
	buffer_gl0_inv
	v_fma_f64 v[32:33], v[50:51], v[36:37], v[32:33]
	v_fma_f64 v[28:29], v[44:45], v[36:37], v[28:29]
	;; [unrolled: 1-line block ×6, first 2 shown]
	v_add_f64 v[24:25], v[72:73], -v[32:33]
	v_add_f64 v[44:45], v[56:57], -v[28:29]
	;; [unrolled: 1-line block ×6, first 2 shown]
	v_fma_f64 v[50:51], v[72:73], 2.0, -v[24:25]
	v_fma_f64 v[26:27], v[56:57], 2.0, -v[44:45]
	;; [unrolled: 1-line block ×6, first 2 shown]
	ds_write2_b64 v77, v[50:51], v[24:25] offset1:2
	ds_write2_b64 v78, v[26:27], v[44:45] offset1:2
	;; [unrolled: 1-line block ×6, first 2 shown]
	s_waitcnt lgkmcnt(0)
	s_barrier
	buffer_gl0_inv
	s_and_saveexec_b32 s1, s0
	s_cbranch_execz .LBB0_14
; %bb.13:
	v_add_nc_u32_e32 v28, 0x400, v86
	v_add_nc_u32_e32 v29, 0x800, v86
	;; [unrolled: 1-line block ×5, first 2 shown]
	ds_read_b64 v[50:51], v61
	ds_read2_b64 v[24:27], v86 offset0:72 offset1:144
	ds_read2_b64 v[44:47], v28 offset0:88 offset1:160
	;; [unrolled: 1-line block ×6, first 2 shown]
.LBB0_14:
	s_or_b32 exec_lo, exec_lo, s1
	v_and_b32_e32 v91, 3, v60
	v_mul_u32_u24_e32 v48, 12, v91
	v_lshlrev_b32_e32 v48, 4, v48
	s_clause 0xb
	global_load_dwordx4 v[52:55], v48, s[8:9] offset:32
	global_load_dwordx4 v[56:59], v48, s[8:9] offset:48
	global_load_dwordx4 v[70:73], v48, s[8:9] offset:64
	global_load_dwordx4 v[92:95], v48, s[8:9] offset:80
	global_load_dwordx4 v[96:99], v48, s[8:9] offset:96
	global_load_dwordx4 v[100:103], v48, s[8:9] offset:112
	global_load_dwordx4 v[104:107], v48, s[8:9] offset:128
	global_load_dwordx4 v[108:111], v48, s[8:9] offset:144
	global_load_dwordx4 v[112:115], v48, s[8:9] offset:160
	global_load_dwordx4 v[116:119], v48, s[8:9] offset:176
	global_load_dwordx4 v[120:123], v48, s[8:9] offset:192
	global_load_dwordx4 v[124:127], v48, s[8:9] offset:208
	s_waitcnt vmcnt(0) lgkmcnt(0)
	s_barrier
	buffer_gl0_inv
	v_mul_f64 v[48:49], v[24:25], v[54:55]
	v_mul_f64 v[54:55], v[8:9], v[54:55]
	v_mul_f64 v[74:75], v[26:27], v[58:59]
	v_mul_f64 v[58:59], v[10:11], v[58:59]
	v_mul_f64 v[82:83], v[44:45], v[72:73]
	v_mul_f64 v[128:129], v[20:21], v[72:73]
	v_mul_f64 v[130:131], v[46:47], v[94:95]
	v_mul_f64 v[94:95], v[22:23], v[94:95]
	v_mul_f64 v[132:133], v[40:41], v[98:99]
	v_mul_f64 v[98:99], v[16:17], v[98:99]
	v_mul_f64 v[134:135], v[42:43], v[102:103]
	v_mul_f64 v[102:103], v[18:19], v[102:103]
	v_mul_f64 v[136:137], v[36:37], v[106:107]
	v_mul_f64 v[106:107], v[12:13], v[106:107]
	v_mul_f64 v[138:139], v[38:39], v[110:111]
	v_mul_f64 v[110:111], v[14:15], v[110:111]
	v_mul_f64 v[140:141], v[32:33], v[114:115]
	v_mul_f64 v[114:115], v[4:5], v[114:115]
	v_mul_f64 v[142:143], v[34:35], v[118:119]
	v_mul_f64 v[118:119], v[6:7], v[118:119]
	v_mul_f64 v[144:145], v[28:29], v[122:123]
	v_mul_f64 v[122:123], v[0:1], v[122:123]
	v_mul_f64 v[146:147], v[30:31], v[126:127]
	v_mul_f64 v[126:127], v[2:3], v[126:127]
	v_fma_f64 v[78:79], v[8:9], v[52:53], -v[48:49]
	v_fma_f64 v[80:81], v[24:25], v[52:53], v[54:55]
	v_fma_f64 v[74:75], v[10:11], v[56:57], -v[74:75]
	v_fma_f64 v[76:77], v[26:27], v[56:57], v[58:59]
	;; [unrolled: 2-line block ×12, first 2 shown]
	v_lshrrev_b32_e32 v95, 2, v60
	s_and_saveexec_b32 s1, s0
	s_cbranch_execz .LBB0_16
; %bb.15:
	v_add_f64 v[2:3], v[68:69], v[78:79]
	v_add_f64 v[0:1], v[80:81], -v[20:21]
	s_mov_b32 s16, 0x4bc48dbf
	s_mov_b32 s20, 0x24c2f84
	;; [unrolled: 1-line block ×4, first 2 shown]
	v_add_f64 v[4:5], v[76:77], -v[22:23]
	v_add_f64 v[6:7], v[78:79], v[82:83]
	s_mov_b32 s4, 0x66966769
	s_mov_b32 s10, 0xd0032e0c
	s_mov_b32 s14, 0x93053d00
	s_mov_b32 s5, 0x3fefc445
	v_add_f64 v[8:9], v[44:45], -v[36:37]
	v_add_f64 v[10:11], v[46:47], -v[26:27]
	s_mov_b32 s11, 0xbfe7f3cc
	s_mov_b32 s39, 0x3fddbe06
	;; [unrolled: 1-line block ×4, first 2 shown]
	v_add_f64 v[18:19], v[48:49], -v[24:25]
	v_add_f64 v[28:29], v[42:43], -v[40:41]
	v_add_f64 v[12:13], v[74:75], v[34:35]
	s_mov_b32 s24, 0x2ef20147
	v_add_f64 v[2:3], v[2:3], v[74:75]
	v_mul_f64 v[14:15], v[0:1], s[16:17]
	v_mul_f64 v[16:17], v[0:1], s[20:21]
	s_mov_b32 s25, 0xbfedeba7
	s_mov_b32 s6, 0xebaa3ed8
	v_mul_f64 v[106:107], v[0:1], s[24:25]
	v_mul_f64 v[98:99], v[4:5], s[38:39]
	v_mul_f64 v[102:103], v[4:5], s[4:5]
	s_mov_b32 s26, 0x42a4c3d2
	s_mov_b32 s18, 0xe00740e9
	;; [unrolled: 1-line block ×9, first 2 shown]
	v_mul_f64 v[120:121], v[8:9], s[38:39]
	v_mul_f64 v[122:123], v[18:19], s[38:39]
	;; [unrolled: 1-line block ×4, first 2 shown]
	s_mov_b32 s39, 0xbfddbe06
	v_add_f64 v[2:3], v[2:3], v[72:73]
	v_fma_f64 v[100:101], v[6:7], s[14:15], v[14:15]
	v_fma_f64 v[14:15], v[6:7], s[14:15], -v[14:15]
	v_fma_f64 v[104:105], v[6:7], s[10:11], v[16:17]
	v_add_f64 v[30:31], v[72:73], v[32:33]
	v_mul_f64 v[108:109], v[0:1], s[36:37]
	v_mul_f64 v[114:115], v[0:1], s[28:29]
	;; [unrolled: 1-line block ×3, first 2 shown]
	v_fma_f64 v[16:17], v[6:7], s[10:11], -v[16:17]
	v_fma_f64 v[124:125], v[12:13], s[18:19], v[98:99]
	v_mul_f64 v[130:131], v[18:19], s[28:29]
	v_fma_f64 v[98:99], v[12:13], s[18:19], -v[98:99]
	v_fma_f64 v[132:133], v[12:13], s[6:7], v[102:103]
	v_mul_f64 v[0:1], v[0:1], s[38:39]
	s_mov_b32 s12, 0xb2365da1
	s_mov_b32 s13, 0xbfd6b1d8
	;; [unrolled: 1-line block ×4, first 2 shown]
	v_fma_f64 v[140:141], v[6:7], s[12:13], v[106:107]
	v_mul_f64 v[110:111], v[4:5], s[34:35]
	v_fma_f64 v[106:107], v[6:7], s[12:13], -v[106:107]
	s_mov_b32 s22, 0x1ea71119
	v_add_f64 v[2:3], v[2:3], v[70:71]
	v_add_f64 v[100:101], v[68:69], v[100:101]
	;; [unrolled: 1-line block ×4, first 2 shown]
	s_mov_b32 s23, 0x3fe22d96
	s_mov_b32 s31, 0x3fcea1e5
	;; [unrolled: 1-line block ×3, first 2 shown]
	v_add_f64 v[92:93], v[70:71], v[38:39]
	v_mul_f64 v[112:113], v[4:5], s[16:17]
	v_mul_f64 v[116:117], v[4:5], s[24:25]
	;; [unrolled: 1-line block ×5, first 2 shown]
	v_fma_f64 v[142:143], v[6:7], s[6:7], v[108:109]
	v_fma_f64 v[102:103], v[12:13], s[6:7], -v[102:103]
	v_fma_f64 v[108:109], v[6:7], s[6:7], -v[108:109]
	v_add_f64 v[16:17], v[68:69], v[16:17]
	v_fma_f64 v[144:145], v[30:31], s[10:11], v[118:119]
	v_fma_f64 v[150:151], v[6:7], s[22:23], v[114:115]
	v_fma_f64 v[118:119], v[30:31], s[10:11], -v[118:119]
	v_fma_f64 v[114:115], v[6:7], s[22:23], -v[114:115]
	v_fma_f64 v[152:153], v[6:7], s[18:19], v[0:1]
	v_add_f64 v[2:3], v[2:3], v[56:57]
	v_add_f64 v[100:101], v[124:125], v[100:101]
	;; [unrolled: 1-line block ×3, first 2 shown]
	v_fma_f64 v[98:99], v[30:31], s[22:23], v[130:131]
	v_add_f64 v[104:105], v[132:133], v[104:105]
	v_fma_f64 v[148:149], v[12:13], s[10:11], v[110:111]
	v_fma_f64 v[110:111], v[12:13], s[10:11], -v[110:111]
	v_add_f64 v[106:107], v[68:69], v[106:107]
	v_fma_f64 v[0:1], v[6:7], s[18:19], -v[0:1]
	s_mov_b32 s41, 0x3fedeba7
	s_mov_b32 s40, s24
	v_add_f64 v[96:97], v[56:57], v[58:59]
	v_mul_f64 v[138:139], v[8:9], s[24:25]
	v_mul_f64 v[124:125], v[18:19], s[40:41]
	;; [unrolled: 1-line block ×3, first 2 shown]
	v_fma_f64 v[132:133], v[12:13], s[14:15], v[112:113]
	v_fma_f64 v[112:113], v[12:13], s[14:15], -v[112:113]
	v_add_f64 v[140:141], v[68:69], v[140:141]
	v_fma_f64 v[154:155], v[92:93], s[22:23], v[134:135]
	v_add_f64 v[142:143], v[68:69], v[142:143]
	v_add_f64 v[16:17], v[102:103], v[16:17]
	;; [unrolled: 1-line block ×5, first 2 shown]
	v_fma_f64 v[108:109], v[12:13], s[12:13], v[116:117]
	v_fma_f64 v[6:7], v[92:93], s[22:23], -v[134:135]
	v_add_f64 v[134:135], v[68:69], v[150:151]
	v_add_f64 v[14:15], v[118:119], v[14:15]
	v_fma_f64 v[118:119], v[92:93], s[14:15], v[136:137]
	v_add_f64 v[98:99], v[98:99], v[104:105]
	v_fma_f64 v[104:105], v[12:13], s[12:13], -v[116:117]
	v_fma_f64 v[116:117], v[12:13], s[22:23], v[4:5]
	v_add_f64 v[114:115], v[68:69], v[114:115]
	v_add_f64 v[144:145], v[68:69], v[152:153]
	v_fma_f64 v[130:131], v[30:31], s[22:23], -v[130:131]
	v_mul_f64 v[18:19], v[18:19], s[36:37]
	v_fma_f64 v[150:151], v[30:31], s[18:19], v[122:123]
	v_fma_f64 v[122:123], v[30:31], s[18:19], -v[122:123]
	v_add_f64 v[106:107], v[110:111], v[106:107]
	v_fma_f64 v[4:5], v[12:13], s[22:23], -v[4:5]
	v_add_f64 v[0:1], v[68:69], v[0:1]
	v_add_f64 v[140:141], v[148:149], v[140:141]
	;; [unrolled: 1-line block ×6, first 2 shown]
	v_fma_f64 v[112:113], v[96:97], s[12:13], v[138:139]
	v_mul_f64 v[12:13], v[10:11], s[36:37]
	v_add_f64 v[68:69], v[108:109], v[134:135]
	v_add_f64 v[6:7], v[6:7], v[14:15]
	v_fma_f64 v[14:15], v[96:97], s[12:13], -v[138:139]
	v_add_f64 v[98:99], v[118:119], v[98:99]
	v_fma_f64 v[108:109], v[96:97], s[18:19], v[120:121]
	v_fma_f64 v[118:119], v[30:31], s[12:13], v[124:125]
	v_add_f64 v[104:105], v[104:105], v[114:115]
	v_add_f64 v[114:115], v[116:117], v[144:145]
	v_fma_f64 v[116:117], v[30:31], s[12:13], -v[124:125]
	v_fma_f64 v[132:133], v[30:31], s[14:15], -v[146:147]
	v_mul_f64 v[134:135], v[10:11], s[34:35]
	v_add_f64 v[16:17], v[130:131], v[16:17]
	v_fma_f64 v[130:131], v[30:31], s[14:15], v[146:147]
	v_add_f64 v[106:107], v[122:123], v[106:107]
	v_fma_f64 v[122:123], v[30:31], s[6:7], v[18:19]
	v_mul_f64 v[10:11], v[10:11], s[24:25]
	v_fma_f64 v[18:19], v[30:31], s[6:7], -v[18:19]
	v_add_f64 v[0:1], v[4:5], v[0:1]
	v_add_f64 v[2:3], v[2:3], v[58:59]
	v_fma_f64 v[136:137], v[92:93], s[14:15], -v[136:137]
	v_add_f64 v[124:125], v[150:151], v[140:141]
	v_add_f64 v[100:101], v[112:113], v[100:101]
	v_fma_f64 v[4:5], v[92:93], s[6:7], v[12:13]
	v_fma_f64 v[30:31], v[96:97], s[18:19], -v[120:121]
	v_mul_f64 v[112:113], v[8:9], s[30:31]
	v_add_f64 v[6:7], v[14:15], v[6:7]
	v_fma_f64 v[12:13], v[92:93], s[6:7], -v[12:13]
	v_add_f64 v[14:15], v[108:109], v[98:99]
	v_add_f64 v[98:99], v[118:119], v[110:111]
	v_fma_f64 v[108:109], v[92:93], s[18:19], v[126:127]
	v_mul_f64 v[110:111], v[8:9], s[28:29]
	v_add_f64 v[102:103], v[116:117], v[102:103]
	v_fma_f64 v[116:117], v[92:93], s[18:19], -v[126:127]
	v_add_f64 v[104:105], v[132:133], v[104:105]
	v_fma_f64 v[118:119], v[92:93], s[10:11], -v[134:135]
	v_mul_f64 v[120:121], v[8:9], s[4:5]
	v_add_f64 v[68:69], v[130:131], v[68:69]
	v_fma_f64 v[126:127], v[92:93], s[10:11], v[134:135]
	v_add_f64 v[114:115], v[122:123], v[114:115]
	v_fma_f64 v[122:123], v[92:93], s[12:13], v[10:11]
	v_fma_f64 v[10:11], v[92:93], s[12:13], -v[10:11]
	v_mul_f64 v[8:9], v[8:9], s[20:21]
	v_add_f64 v[0:1], v[18:19], v[0:1]
	v_add_f64 v[2:3], v[2:3], v[38:39]
	;; [unrolled: 1-line block ×5, first 2 shown]
	v_fma_f64 v[92:93], v[96:97], s[14:15], v[112:113]
	v_mul_f64 v[124:125], v[28:29], s[4:5]
	v_add_f64 v[12:13], v[12:13], v[106:107]
	v_fma_f64 v[106:107], v[96:97], s[14:15], -v[112:113]
	v_mul_f64 v[112:113], v[28:29], s[24:25]
	v_add_f64 v[98:99], v[108:109], v[98:99]
	v_fma_f64 v[108:109], v[96:97], s[22:23], v[110:111]
	v_add_f64 v[102:103], v[116:117], v[102:103]
	v_fma_f64 v[110:111], v[96:97], s[22:23], -v[110:111]
	v_mul_f64 v[116:117], v[28:29], s[20:21]
	v_add_f64 v[104:105], v[118:119], v[104:105]
	v_fma_f64 v[118:119], v[96:97], s[6:7], -v[120:121]
	v_mul_f64 v[130:131], v[28:29], s[26:27]
	v_add_f64 v[68:69], v[126:127], v[68:69]
	v_fma_f64 v[120:121], v[96:97], s[6:7], v[120:121]
	v_add_f64 v[114:115], v[122:123], v[114:115]
	v_mul_f64 v[28:29], v[28:29], s[16:17]
	v_fma_f64 v[122:123], v[96:97], s[10:11], -v[8:9]
	v_add_f64 v[0:1], v[10:11], v[0:1]
	v_add_f64 v[2:3], v[2:3], v[32:33]
	v_fma_f64 v[8:9], v[96:97], s[10:11], v[8:9]
	v_add_f64 v[10:11], v[30:31], v[16:17]
	v_add_f64 v[4:5], v[92:93], v[4:5]
	v_fma_f64 v[30:31], v[18:19], s[6:7], -v[124:125]
	v_fma_f64 v[16:17], v[18:19], s[6:7], v[124:125]
	v_add_f64 v[12:13], v[106:107], v[12:13]
	v_fma_f64 v[92:93], v[18:19], s[12:13], v[112:113]
	v_fma_f64 v[96:97], v[18:19], s[12:13], -v[112:113]
	v_add_f64 v[98:99], v[108:109], v[98:99]
	v_mul_u32_u24_e32 v94, 52, v95
	v_add_f64 v[102:103], v[110:111], v[102:103]
	v_fma_f64 v[112:113], v[18:19], s[10:11], -v[116:117]
	v_fma_f64 v[110:111], v[18:19], s[10:11], v[116:117]
	v_add_f64 v[104:105], v[118:119], v[104:105]
	v_fma_f64 v[118:119], v[18:19], s[18:19], -v[128:129]
	v_fma_f64 v[108:109], v[18:19], s[22:23], -v[130:131]
	v_fma_f64 v[106:107], v[18:19], s[22:23], v[130:131]
	v_fma_f64 v[116:117], v[18:19], s[18:19], v[128:129]
	v_add_f64 v[68:69], v[120:121], v[68:69]
	v_fma_f64 v[120:121], v[18:19], s[14:15], v[28:29]
	v_fma_f64 v[18:19], v[18:19], s[14:15], -v[28:29]
	v_add_f64 v[0:1], v[122:123], v[0:1]
	v_add_f64 v[2:3], v[2:3], v[34:35]
	;; [unrolled: 1-line block ×16, first 2 shown]
	v_or_b32_e32 v18, v94, v91
	v_lshlrev_b32_e32 v18, 3, v18
	v_add3_u32 v18, 0, v18, v87
	ds_write2_b64 v18, v[30:31], v[28:29] offset0:8 offset1:12
	ds_write2_b64 v18, v[12:13], v[10:11] offset0:16 offset1:20
	;; [unrolled: 1-line block ×5, first 2 shown]
	ds_write2_b64 v18, v[2:3], v[0:1] offset1:4
	ds_write_b64 v18, v[8:9] offset:384
.LBB0_16:
	s_or_b32 exec_lo, exec_lo, s1
	v_add_nc_u32_e32 v69, 0x800, v86
	v_add_nc_u32_e32 v92, 0x1000, v86
	;; [unrolled: 1-line block ×4, first 2 shown]
	s_waitcnt lgkmcnt(0)
	s_barrier
	buffer_gl0_inv
	ds_read2_b64 v[0:3], v69 offset0:134 offset1:212
	ds_read2_b64 v[4:7], v86 offset0:78 offset1:156
	;; [unrolled: 1-line block ×5, first 2 shown]
	ds_read_b64 v[28:29], v61
	ds_read_b64 v[30:31], v86 offset:6864
	s_waitcnt lgkmcnt(0)
	s_barrier
	buffer_gl0_inv
	s_and_saveexec_b32 s33, s0
	s_cbranch_execz .LBB0_18
; %bb.17:
	v_add_f64 v[96:97], v[50:51], v[80:81]
	v_add_f64 v[78:79], v[78:79], -v[82:83]
	v_add_f64 v[34:35], v[74:75], -v[34:35]
	v_add_f64 v[74:75], v[48:49], v[24:25]
	v_add_f64 v[32:33], v[72:73], -v[32:33]
	v_add_f64 v[72:73], v[46:47], v[26:27]
	s_mov_b32 s22, 0x42a4c3d2
	s_mov_b32 s28, 0x66966769
	;; [unrolled: 1-line block ×11, first 2 shown]
	v_add_f64 v[80:81], v[80:81], v[20:21]
	s_mov_b32 s25, 0xbfcea1e5
	v_add_f64 v[52:53], v[52:53], -v[54:55]
	v_add_f64 v[38:39], v[70:71], -v[38:39]
	v_add_f64 v[70:71], v[44:45], v[36:37]
	v_add_f64 v[82:83], v[96:97], v[76:77]
	v_mul_f64 v[54:55], v[78:79], s[16:17]
	v_mul_f64 v[96:97], v[78:79], s[28:29]
	v_mul_f64 v[98:99], v[78:79], s[18:19]
	v_mul_f64 v[100:101], v[78:79], s[20:21]
	s_mov_b32 s0, 0xe00740e9
	s_mov_b32 s6, 0x1ea71119
	;; [unrolled: 1-line block ×17, first 2 shown]
	v_add_f64 v[48:49], v[82:83], v[48:49]
	v_mul_f64 v[82:83], v[78:79], s[22:23]
	v_mul_f64 v[78:79], v[78:79], s[24:25]
	v_add_f64 v[76:77], v[76:77], v[22:23]
	v_mul_f64 v[102:103], v[34:35], s[22:23]
	v_mul_f64 v[104:105], v[34:35], s[18:19]
	;; [unrolled: 1-line block ×6, first 2 shown]
	v_fma_f64 v[150:151], v[80:81], s[0:1], v[54:55]
	v_fma_f64 v[152:153], v[80:81], s[4:5], v[96:97]
	v_fma_f64 v[96:97], v[80:81], s[4:5], -v[96:97]
	v_fma_f64 v[154:155], v[80:81], s[10:11], v[98:99]
	v_fma_f64 v[98:99], v[80:81], s[10:11], -v[98:99]
	v_fma_f64 v[156:157], v[80:81], s[12:13], v[100:101]
	v_add_f64 v[56:57], v[56:57], -v[58:59]
	v_add_f64 v[58:59], v[42:43], v[40:41]
	v_fma_f64 v[100:101], v[80:81], s[12:13], -v[100:101]
	s_mov_b32 s37, 0x3fedeba7
	s_mov_b32 s36, s18
	v_mul_f64 v[112:113], v[32:33], s[28:29]
	v_add_f64 v[46:47], v[48:49], v[46:47]
	v_mul_f64 v[114:115], v[32:33], s[24:25]
	v_fma_f64 v[158:159], v[80:81], s[14:15], v[78:79]
	v_fma_f64 v[78:79], v[80:81], s[14:15], -v[78:79]
	v_mul_f64 v[116:117], v[32:33], s[36:37]
	v_mul_f64 v[118:119], v[32:33], s[22:23]
	;; [unrolled: 1-line block ×4, first 2 shown]
	v_fma_f64 v[160:161], v[76:77], s[10:11], v[104:105]
	v_fma_f64 v[104:105], v[76:77], s[10:11], -v[104:105]
	v_fma_f64 v[162:163], v[76:77], s[14:15], v[106:107]
	v_fma_f64 v[106:107], v[76:77], s[14:15], -v[106:107]
	;; [unrolled: 2-line block ×5, first 2 shown]
	v_add_f64 v[96:97], v[50:51], v[96:97]
	v_add_f64 v[98:99], v[50:51], v[98:99]
	;; [unrolled: 1-line block ×3, first 2 shown]
	s_mov_b32 s39, 0x3fcea1e5
	v_add_f64 v[44:45], v[46:47], v[44:45]
	v_fma_f64 v[46:47], v[80:81], s[0:1], -v[54:55]
	v_fma_f64 v[54:55], v[80:81], s[6:7], v[82:83]
	v_fma_f64 v[82:83], v[80:81], s[6:7], -v[82:83]
	v_fma_f64 v[80:81], v[76:77], s[6:7], v[102:103]
	v_fma_f64 v[102:103], v[76:77], s[6:7], -v[102:103]
	v_add_f64 v[76:77], v[50:51], v[150:151]
	v_add_f64 v[150:151], v[50:51], v[152:153]
	;; [unrolled: 1-line block ×6, first 2 shown]
	s_mov_b32 s35, 0x3fea55e2
	s_mov_b32 s38, s24
	;; [unrolled: 1-line block ×3, first 2 shown]
	v_mul_f64 v[48:49], v[38:39], s[18:19]
	v_mul_f64 v[122:123], v[38:39], s[30:31]
	;; [unrolled: 1-line block ×6, first 2 shown]
	v_fma_f64 v[168:169], v[74:75], s[14:15], v[114:115]
	v_add_f64 v[42:43], v[44:45], v[42:43]
	v_add_f64 v[46:47], v[50:51], v[46:47]
	;; [unrolled: 1-line block ×4, first 2 shown]
	v_fma_f64 v[44:45], v[74:75], s[4:5], v[112:113]
	v_fma_f64 v[112:113], v[74:75], s[4:5], -v[112:113]
	v_fma_f64 v[114:115], v[74:75], s[14:15], -v[114:115]
	v_fma_f64 v[170:171], v[74:75], s[10:11], v[116:117]
	v_fma_f64 v[116:117], v[74:75], s[10:11], -v[116:117]
	v_fma_f64 v[172:173], v[74:75], s[6:7], v[118:119]
	;; [unrolled: 2-line block ×3, first 2 shown]
	v_fma_f64 v[32:33], v[74:75], s[0:1], -v[32:33]
	v_add_f64 v[98:99], v[108:109], v[98:99]
	v_add_f64 v[34:35], v[34:35], v[78:79]
	;; [unrolled: 1-line block ×3, first 2 shown]
	v_mul_f64 v[132:133], v[56:57], s[26:27]
	v_mul_f64 v[134:135], v[56:57], s[22:23]
	v_fma_f64 v[158:159], v[72:73], s[10:11], v[48:49]
	v_fma_f64 v[48:49], v[72:73], s[10:11], -v[48:49]
	v_fma_f64 v[50:51], v[72:73], s[12:13], v[122:123]
	v_fma_f64 v[122:123], v[72:73], s[12:13], -v[122:123]
	v_add_f64 v[40:41], v[42:43], v[40:41]
	v_fma_f64 v[42:43], v[74:75], s[12:13], v[120:121]
	v_fma_f64 v[120:121], v[74:75], s[12:13], -v[120:121]
	v_add_f64 v[74:75], v[80:81], v[76:77]
	v_add_f64 v[54:55], v[160:161], v[54:55]
	;; [unrolled: 1-line block ×9, first 2 shown]
	v_fma_f64 v[176:177], v[72:73], s[4:5], v[124:125]
	v_fma_f64 v[78:79], v[72:73], s[14:15], v[126:127]
	v_fma_f64 v[108:109], v[72:73], s[14:15], -v[126:127]
	v_fma_f64 v[110:111], v[72:73], s[6:7], v[128:129]
	v_fma_f64 v[102:103], v[72:73], s[6:7], -v[128:129]
	;; [unrolled: 2-line block ×3, first 2 shown]
	v_mul_f64 v[130:131], v[56:57], s[20:21]
	v_mul_f64 v[136:137], v[56:57], s[38:39]
	;; [unrolled: 1-line block ×3, first 2 shown]
	v_add_f64 v[36:37], v[40:41], v[36:37]
	v_fma_f64 v[40:41], v[72:73], s[4:5], -v[124:125]
	v_mul_f64 v[56:57], v[56:57], s[16:17]
	v_add_f64 v[44:45], v[44:45], v[74:75]
	v_add_f64 v[54:55], v[168:169], v[54:55]
	;; [unrolled: 1-line block ×12, first 2 shown]
	v_mul_f64 v[140:141], v[52:53], s[24:25]
	v_mul_f64 v[142:143], v[52:53], s[20:21]
	;; [unrolled: 1-line block ×6, first 2 shown]
	v_fma_f64 v[126:127], v[70:71], s[4:5], v[132:133]
	v_add_f64 v[26:27], v[36:37], v[26:27]
	v_fma_f64 v[36:37], v[70:71], s[4:5], -v[132:133]
	v_fma_f64 v[98:99], v[70:71], s[6:7], v[134:135]
	v_fma_f64 v[104:105], v[70:71], s[14:15], v[136:137]
	v_add_f64 v[50:51], v[50:51], v[54:55]
	v_add_f64 v[54:55], v[122:123], v[72:73]
	;; [unrolled: 1-line block ×3, first 2 shown]
	v_fma_f64 v[116:117], v[70:71], s[0:1], v[56:57]
	v_add_f64 v[74:75], v[176:177], v[80:81]
	v_add_f64 v[32:33], v[40:41], v[32:33]
	;; [unrolled: 1-line block ×3, first 2 shown]
	v_fma_f64 v[112:113], v[70:71], s[10:11], v[138:139]
	v_fma_f64 v[114:115], v[70:71], s[10:11], -v[138:139]
	v_add_f64 v[42:43], v[110:111], v[42:43]
	v_add_f64 v[34:35], v[102:103], v[34:35]
	v_fma_f64 v[106:107], v[70:71], s[14:15], -v[136:137]
	v_fma_f64 v[56:57], v[70:71], s[0:1], -v[56:57]
	v_add_f64 v[38:39], v[38:39], v[76:77]
	v_add_f64 v[76:77], v[108:109], v[96:97]
	v_fma_f64 v[100:101], v[70:71], s[6:7], -v[134:135]
	v_fma_f64 v[124:125], v[70:71], s[12:13], v[130:131]
	v_add_f64 v[44:45], v[158:159], v[44:45]
	v_add_f64 v[24:25], v[26:27], v[24:25]
	v_fma_f64 v[26:27], v[70:71], s[12:13], -v[130:131]
	v_add_f64 v[46:47], v[48:49], v[46:47]
	v_fma_f64 v[78:79], v[58:59], s[12:13], v[142:143]
	v_fma_f64 v[102:103], v[58:59], s[0:1], v[52:53]
	v_add_f64 v[50:51], v[126:127], v[50:51]
	v_add_f64 v[36:37], v[36:37], v[54:55]
	v_add_f64 v[54:55], v[98:99], v[72:73]
	v_fma_f64 v[80:81], v[58:59], s[6:7], v[144:145]
	v_fma_f64 v[82:83], v[58:59], s[10:11], v[146:147]
	v_fma_f64 v[52:53], v[58:59], s[0:1], -v[52:53]
	v_add_f64 v[72:73], v[104:105], v[74:75]
	v_add_f64 v[40:41], v[116:117], v[40:41]
	v_fma_f64 v[96:97], v[58:59], s[4:5], v[148:149]
	v_add_f64 v[42:43], v[112:113], v[42:43]
	v_add_f64 v[34:35], v[114:115], v[34:35]
	v_fma_f64 v[48:49], v[58:59], s[6:7], -v[144:145]
	v_add_f64 v[32:33], v[106:107], v[32:33]
	v_add_f64 v[56:57], v[56:57], v[76:77]
	v_fma_f64 v[74:75], v[58:59], s[10:11], -v[146:147]
	v_add_f64 v[38:39], v[100:101], v[38:39]
	v_fma_f64 v[76:77], v[58:59], s[12:13], -v[142:143]
	v_add_f64 v[22:23], v[24:25], v[22:23]
	v_fma_f64 v[24:25], v[58:59], s[4:5], -v[148:149]
	v_fma_f64 v[70:71], v[58:59], s[14:15], v[140:141]
	v_add_f64 v[44:45], v[124:125], v[44:45]
	v_fma_f64 v[58:59], v[58:59], s[14:15], -v[140:141]
	v_add_f64 v[26:27], v[26:27], v[46:47]
	v_add_f64 v[46:47], v[102:103], v[50:51]
	;; [unrolled: 1-line block ×3, first 2 shown]
	v_mul_u32_u24_e32 v68, 52, v95
	v_add_f64 v[36:37], v[52:53], v[36:37]
	v_add_f64 v[52:53], v[80:81], v[72:73]
	;; [unrolled: 1-line block ×11, first 2 shown]
	v_or_b32_e32 v26, v68, v91
	v_lshlrev_b32_e32 v26, 3, v26
	v_add3_u32 v26, 0, v26, v87
	ds_write2_b64 v26, v[46:47], v[50:51] offset0:8 offset1:12
	ds_write2_b64 v26, v[52:53], v[40:41] offset0:16 offset1:20
	;; [unrolled: 1-line block ×5, first 2 shown]
	ds_write2_b64 v26, v[20:21], v[44:45] offset1:4
	ds_write_b64 v26, v[22:23] offset:384
.LBB0_18:
	s_or_b32 exec_lo, exec_lo, s33
	v_and_b32_e32 v22, 0xff, v88
	v_and_b32_e32 v25, 0xff, v85
	v_mov_b32_e32 v26, 0x4ec5
	v_subrev_nc_u32_e32 v20, 52, v60
	v_cmp_gt_u32_e64 s0, 52, v60
	v_mul_lo_u16 v24, 0x4f, v22
	v_mul_lo_u16 v105, 0x4f, v25
	v_mul_u32_u24_sdwa v106, v84, v26 dst_sel:DWORD dst_unused:UNUSED_PAD src0_sel:WORD_0 src1_sel:DWORD
	v_mul_u32_u24_sdwa v25, v90, v26 dst_sel:DWORD dst_unused:UNUSED_PAD src0_sel:WORD_0 src1_sel:DWORD
	v_mov_b32_e32 v21, 0
	v_lshrrev_b16 v91, 12, v24
	v_mul_u32_u24_sdwa v24, v89, v26 dst_sel:DWORD dst_unused:UNUSED_PAD src0_sel:WORD_0 src1_sel:DWORD
	v_cndmask_b32_e64 v20, v20, v60, s0
	v_lshrrev_b16 v107, 12, v105
	v_lshrrev_b32_e32 v108, 20, v106
	v_mul_lo_u16 v26, v91, 52
	v_lshrrev_b32_e32 v109, 20, v24
	v_lshrrev_b32_e32 v110, 20, v25
	v_lshlrev_b64 v[22:23], 4, v[20:21]
	v_mul_lo_u16 v24, v107, 52
	v_mul_lo_u16 v25, v108, 52
	v_sub_nc_u16 v111, v88, v26
	v_mul_lo_u16 v26, v109, 52
	v_mul_lo_u16 v27, v110, 52
	v_mov_b32_e32 v32, 4
	v_sub_nc_u16 v112, v85, v24
	v_add_co_u32 v22, s0, s8, v22
	v_sub_nc_u16 v113, v84, v25
	v_sub_nc_u16 v114, v89, v26
	;; [unrolled: 1-line block ×3, first 2 shown]
	v_add_co_ci_u32_e64 v23, s0, s9, v23, s0
	v_lshlrev_b32_sdwa v33, v32, v111 dst_sel:DWORD dst_unused:UNUSED_PAD src0_sel:DWORD src1_sel:BYTE_0
	v_lshlrev_b32_sdwa v36, v32, v112 dst_sel:DWORD dst_unused:UNUSED_PAD src0_sel:DWORD src1_sel:BYTE_0
	v_lshlrev_b32_sdwa v40, v32, v113 dst_sel:DWORD dst_unused:UNUSED_PAD src0_sel:DWORD src1_sel:WORD_0
	v_lshlrev_b32_sdwa v44, v32, v114 dst_sel:DWORD dst_unused:UNUSED_PAD src0_sel:DWORD src1_sel:WORD_0
	;; [unrolled: 1-line block ×3, first 2 shown]
	s_waitcnt lgkmcnt(0)
	s_barrier
	buffer_gl0_inv
	s_clause 0x5
	global_load_dwordx4 v[24:27], v[22:23], off offset:800
	global_load_dwordx4 v[32:35], v33, s[8:9] offset:800
	global_load_dwordx4 v[36:39], v36, s[8:9] offset:800
	;; [unrolled: 1-line block ×5, first 2 shown]
	ds_read2_b64 v[52:55], v69 offset0:134 offset1:212
	ds_read2_b64 v[56:59], v92 offset0:34 offset1:112
	;; [unrolled: 1-line block ×3, first 2 shown]
	ds_read_b64 v[82:83], v86 offset:6864
	ds_read_b64 v[89:90], v61
	ds_read2_b64 v[74:77], v86 offset0:78 offset1:156
	v_cmp_lt_u32_e64 s0, 51, v60
	v_subrev_nc_u32_e32 v23, 26, v60
	ds_read2_b64 v[78:81], v94 offset0:106 offset1:184
	v_mov_b32_e32 v68, v21
	v_mov_b32_e32 v116, 3
	v_cndmask_b32_e64 v22, 0, 0x340, s0
	v_cmp_gt_u32_e64 s0, 26, v60
	v_lshrrev_b16 v120, 13, v105
	v_lshlrev_b64 v[67:68], 4, v[67:68]
	v_lshrrev_b32_e32 v105, 21, v106
	v_add_nc_u32_e32 v118, 0, v22
	v_cndmask_b32_e64 v119, v23, v88, s0
	v_and_b32_e32 v91, 0xffff, v91
	v_and_b32_e32 v106, 0xffff, v107
	v_mad_u32_u24 v107, 0x340, v108, 0
	v_mad_u32_u24 v108, 0x340, v109, 0
	v_lshlrev_b32_e32 v88, 3, v20
	v_lshlrev_b32_e32 v20, 1, v119
	v_mov_b32_e32 v117, 5
	s_waitcnt vmcnt(0) lgkmcnt(0)
	s_barrier
	v_add3_u32 v88, v118, v88, v87
	buffer_gl0_inv
	s_mov_b32 s5, 0xbfebb67a
	v_mul_f64 v[22:23], v[54:55], v[26:27]
	v_mul_f64 v[26:27], v[2:3], v[26:27]
	;; [unrolled: 1-line block ×12, first 2 shown]
	v_fma_f64 v[2:3], v[2:3], v[24:25], -v[22:23]
	v_fma_f64 v[24:25], v[54:55], v[24:25], v[26:27]
	v_fma_f64 v[12:13], v[12:13], v[32:33], -v[95:96]
	v_fma_f64 v[26:27], v[56:57], v[32:33], v[34:35]
	;; [unrolled: 2-line block ×6, first 2 shown]
	v_add_co_u32 v22, s0, s8, v67
	v_add_co_ci_u32_e64 v23, s0, s9, v68, s0
	v_mad_u32_u24 v67, 0x340, v91, 0
	v_mad_u32_u24 v68, 0x340, v106, 0
	v_lshlrev_b32_sdwa v42, v116, v111 dst_sel:DWORD dst_unused:UNUSED_PAD src0_sel:DWORD src1_sel:BYTE_0
	v_lshlrev_b32_sdwa v43, v116, v112 dst_sel:DWORD dst_unused:UNUSED_PAD src0_sel:DWORD src1_sel:BYTE_0
	v_lshlrev_b32_sdwa v44, v116, v113 dst_sel:DWORD dst_unused:UNUSED_PAD src0_sel:DWORD src1_sel:WORD_0
	v_lshlrev_b32_sdwa v45, v116, v114 dst_sel:DWORD dst_unused:UNUSED_PAD src0_sel:DWORD src1_sel:WORD_0
	v_add_f64 v[2:3], v[28:29], -v[2:3]
	v_add_f64 v[24:25], v[89:90], -v[24:25]
	;; [unrolled: 1-line block ×12, first 2 shown]
	v_mad_u32_u24 v97, 0x340, v110, 0
	v_lshlrev_b32_sdwa v46, v116, v115 dst_sel:DWORD dst_unused:UNUSED_PAD src0_sel:DWORD src1_sel:WORD_0
	v_add3_u32 v55, v67, v42, v87
	v_add3_u32 v56, v68, v43, v87
	;; [unrolled: 1-line block ×5, first 2 shown]
	v_lshlrev_b64 v[95:96], 4, v[20:21]
	v_mul_lo_u16 v20, 0x68, v120
	v_mul_lo_u16 v98, 0x68, v105
	v_fma_f64 v[28:29], v[28:29], 2.0, -v[2:3]
	v_fma_f64 v[42:43], v[89:90], 2.0, -v[24:25]
	;; [unrolled: 1-line block ×12, first 2 shown]
	v_sub_nc_u16 v20, v85, v20
	v_add_co_u32 v40, s0, s8, v95
	v_sub_nc_u16 v118, v84, v98
	ds_write2_b64 v88, v[28:29], v[2:3] offset1:52
	ds_write2_b64 v55, v[4:5], v[12:13] offset1:52
	;; [unrolled: 1-line block ×6, first 2 shown]
	s_waitcnt lgkmcnt(0)
	s_barrier
	buffer_gl0_inv
	ds_read2_b64 v[0:3], v94 offset0:106 offset1:184
	ds_read2_b64 v[4:7], v92 offset0:34 offset1:112
	;; [unrolled: 1-line block ×5, first 2 shown]
	ds_read_b64 v[67:68], v61
	ds_read_b64 v[82:83], v86 offset:6864
	s_waitcnt lgkmcnt(0)
	s_barrier
	buffer_gl0_inv
	ds_write2_b64 v88, v[42:43], v[24:25] offset1:52
	ds_write2_b64 v55, v[44:45], v[26:27] offset1:52
	;; [unrolled: 1-line block ×6, first 2 shown]
	s_waitcnt lgkmcnt(0)
	s_barrier
	buffer_gl0_inv
	s_clause 0x1
	global_load_dwordx4 v[24:27], v[22:23], off offset:1648
	global_load_dwordx4 v[28:31], v[22:23], off offset:1632
	v_add_co_ci_u32_e64 v41, s0, s9, v96, s0
	v_lshlrev_b32_sdwa v54, v117, v20 dst_sel:DWORD dst_unused:UNUSED_PAD src0_sel:DWORD src1_sel:BYTE_0
	v_lshlrev_b32_sdwa v52, v117, v118 dst_sel:DWORD dst_unused:UNUSED_PAD src0_sel:DWORD src1_sel:WORD_0
	s_clause 0x5
	global_load_dwordx4 v[32:35], v[40:41], off offset:1632
	global_load_dwordx4 v[36:39], v[40:41], off offset:1648
	global_load_dwordx4 v[40:43], v54, s[8:9] offset:1632
	global_load_dwordx4 v[44:47], v54, s[8:9] offset:1648
	;; [unrolled: 1-line block ×4, first 2 shown]
	ds_read2_b64 v[56:59], v94 offset0:106 offset1:184
	ds_read2_b64 v[70:73], v92 offset0:34 offset1:112
	;; [unrolled: 1-line block ×4, first 2 shown]
	ds_read_b64 v[88:89], v86 offset:6864
	v_cmp_lt_u32_e64 s0, 25, v60
	v_lshlrev_b32_sdwa v20, v116, v20 dst_sel:DWORD dst_unused:UNUSED_PAD src0_sel:DWORD src1_sel:BYTE_0
	ds_read_b64 v[109:110], v61
	v_cndmask_b32_e64 v111, 0, 0x9c0, s0
	s_mov_b32 s0, 0xe8584caa
	s_mov_b32 s1, 0x3febb67a
	;; [unrolled: 1-line block ×3, first 2 shown]
	s_waitcnt vmcnt(7) lgkmcnt(4)
	v_mul_f64 v[95:96], v[72:73], v[26:27]
	s_waitcnt vmcnt(6)
	v_mul_f64 v[90:91], v[58:59], v[30:31]
	s_waitcnt vmcnt(5) lgkmcnt(3)
	v_mul_f64 v[97:98], v[74:75], v[34:35]
	s_waitcnt vmcnt(4) lgkmcnt(2)
	v_mul_f64 v[99:100], v[78:79], v[38:39]
	s_waitcnt vmcnt(3)
	v_mul_f64 v[101:102], v[76:77], v[42:43]
	s_waitcnt vmcnt(2)
	;; [unrolled: 2-line block ×3, first 2 shown]
	v_mul_f64 v[105:106], v[70:71], v[50:51]
	s_waitcnt vmcnt(0) lgkmcnt(1)
	v_mul_f64 v[107:108], v[88:89], v[54:55]
	v_mul_f64 v[30:31], v[2:3], v[30:31]
	;; [unrolled: 1-line block ×9, first 2 shown]
	v_fma_f64 v[6:7], v[6:7], v[24:25], -v[95:96]
	v_fma_f64 v[90:91], v[2:3], v[28:29], -v[90:91]
	;; [unrolled: 1-line block ×8, first 2 shown]
	v_fma_f64 v[28:29], v[58:59], v[28:29], v[30:31]
	v_fma_f64 v[24:25], v[72:73], v[24:25], v[26:27]
	;; [unrolled: 1-line block ×8, first 2 shown]
	v_and_b32_e32 v4, 0xffff, v120
	v_add_nc_u32_e32 v2, 0, v111
	v_lshlrev_b32_e32 v3, 3, v119
	v_lshlrev_b32_sdwa v5, v116, v118 dst_sel:DWORD dst_unused:UNUSED_PAD src0_sel:DWORD src1_sel:WORD_0
	v_mad_u32_u24 v4, 0x9c0, v4, 0
	v_add_f64 v[40:41], v[90:91], v[6:7]
	v_add_f64 v[48:49], v[67:68], v[90:91]
	;; [unrolled: 1-line block ×3, first 2 shown]
	v_add3_u32 v80, 0, v5, v87
	v_add_f64 v[44:45], v[14:15], v[18:19]
	v_add3_u32 v81, v2, v3, v87
	v_add_f64 v[46:47], v[95:96], v[82:83]
	v_add3_u32 v20, v4, v20, v87
	v_add_f64 v[50:51], v[28:29], -v[24:25]
	v_add_f64 v[52:53], v[28:29], v[24:25]
	v_add_f64 v[54:55], v[26:27], v[30:31]
	ds_read2_b64 v[2:5], v86 offset0:78 offset1:156
	v_add_f64 v[70:71], v[32:33], v[34:35]
	v_add_f64 v[58:59], v[8:9], v[12:13]
	;; [unrolled: 1-line block ×5, first 2 shown]
	s_waitcnt lgkmcnt(1)
	v_add_f64 v[28:29], v[109:110], v[28:29]
	v_add_f64 v[12:13], v[12:13], -v[16:17]
	v_add_f64 v[14:15], v[14:15], -v[18:19]
	;; [unrolled: 1-line block ×3, first 2 shown]
	v_add_nc_u32_e32 v87, 0x1000, v80
	v_fma_f64 v[40:41], v[40:41], -0.5, v[67:68]
	v_add_f64 v[67:68], v[26:27], -v[30:31]
	v_fma_f64 v[8:9], v[42:43], -0.5, v[8:9]
	v_add_f64 v[42:43], v[32:33], -v[34:35]
	;; [unrolled: 2-line block ×4, first 2 shown]
	v_add_f64 v[36:37], v[56:57], v[36:37]
	s_waitcnt lgkmcnt(0)
	v_add_f64 v[26:27], v[2:3], v[26:27]
	v_add_f64 v[32:33], v[4:5], v[32:33]
	v_fma_f64 v[52:53], v[52:53], -0.5, v[109:110]
	v_add_f64 v[6:7], v[48:49], v[6:7]
	v_fma_f64 v[2:3], v[54:55], -0.5, v[2:3]
	v_fma_f64 v[4:5], v[70:71], -0.5, v[4:5]
	;; [unrolled: 1-line block ×3, first 2 shown]
	v_add_f64 v[16:17], v[58:59], v[16:17]
	v_add_f64 v[18:19], v[72:73], v[18:19]
	;; [unrolled: 1-line block ×3, first 2 shown]
	s_barrier
	buffer_gl0_inv
	v_fma_f64 v[56:57], v[50:51], s[0:1], v[40:41]
	v_fma_f64 v[40:41], v[50:51], s[4:5], v[40:41]
	;; [unrolled: 1-line block ×8, first 2 shown]
	v_add_f64 v[28:29], v[28:29], v[24:25]
	v_add_f64 v[30:31], v[26:27], v[30:31]
	;; [unrolled: 1-line block ×4, first 2 shown]
	v_fma_f64 v[36:37], v[46:47], s[4:5], v[52:53]
	v_fma_f64 v[38:39], v[46:47], s[0:1], v[52:53]
	;; [unrolled: 1-line block ×6, first 2 shown]
	ds_write2_b64 v86, v[6:7], v[56:57] offset1:104
	ds_write_b64 v86, v[40:41] offset:1664
	ds_write2_b64 v81, v[16:17], v[50:51] offset1:104
	ds_write_b64 v81, v[8:9] offset:1664
	;; [unrolled: 2-line block ×3, first 2 shown]
	ds_write2_b64 v87, v[54:55], v[42:43] offset0:112 offset1:216
	ds_write_b64 v80, v[0:1] offset:6656
	s_waitcnt lgkmcnt(0)
	s_barrier
	buffer_gl0_inv
	ds_read2_b64 v[4:7], v94 offset0:106 offset1:184
	ds_read2_b64 v[16:19], v92 offset0:34 offset1:112
	;; [unrolled: 1-line block ×5, first 2 shown]
	ds_read_b64 v[24:25], v61
	ds_read_b64 v[26:27], v86 offset:6864
	v_fma_f64 v[70:71], v[78:79], s[4:5], v[48:49]
	v_fma_f64 v[48:49], v[78:79], s[0:1], v[48:49]
	s_waitcnt lgkmcnt(0)
	s_barrier
	buffer_gl0_inv
	ds_write2_b64 v86, v[28:29], v[36:37] offset1:104
	ds_write_b64 v86, v[38:39] offset:1664
	ds_write2_b64 v81, v[30:31], v[44:45] offset1:104
	ds_write_b64 v81, v[46:47] offset:1664
	;; [unrolled: 2-line block ×3, first 2 shown]
	ds_write2_b64 v87, v[34:35], v[70:71] offset0:112 offset1:216
	ds_write_b64 v80, v[48:49] offset:6656
	s_waitcnt lgkmcnt(0)
	s_barrier
	buffer_gl0_inv
	s_and_saveexec_b32 s6, vcc_lo
	s_cbranch_execz .LBB0_20
; %bb.19:
	v_mov_b32_e32 v67, v21
	v_add_nc_u32_e32 v72, 0x400, v86
	v_add_nc_u32_e32 v76, 0x800, v86
	;; [unrolled: 1-line block ×3, first 2 shown]
	v_lshlrev_b64 v[28:29], 4, v[66:67]
	v_mov_b32_e32 v66, v21
	v_add_co_u32 v20, vcc_lo, s8, v28
	v_add_co_ci_u32_e32 v31, vcc_lo, s9, v29, vcc_lo
	v_lshlrev_b64 v[28:29], 4, v[65:66]
	v_add_co_u32 v32, vcc_lo, 0x1360, v20
	v_add_co_ci_u32_e32 v33, vcc_lo, 0, v31, vcc_lo
	v_add_co_u32 v30, vcc_lo, 0x1000, v20
	v_add_co_ci_u32_e32 v31, vcc_lo, 0, v31, vcc_lo
	;; [unrolled: 2-line block ×3, first 2 shown]
	v_mov_b32_e32 v65, v21
	v_add_co_u32 v48, vcc_lo, 0x1360, v20
	v_add_co_ci_u32_e32 v49, vcc_lo, 0, v36, vcc_lo
	v_add_co_u32 v44, vcc_lo, 0x1000, v20
	v_add_co_ci_u32_e32 v45, vcc_lo, 0, v36, vcc_lo
	v_lshlrev_b64 v[36:37], 4, v[64:65]
	v_add_co_u32 v40, vcc_lo, 0x1360, v22
	v_add_co_ci_u32_e32 v41, vcc_lo, 0, v23, vcc_lo
	v_add_co_u32 v22, vcc_lo, 0x1000, v22
	v_add_co_ci_u32_e32 v23, vcc_lo, 0, v23, vcc_lo
	v_add_co_u32 v20, vcc_lo, s8, v36
	v_add_co_ci_u32_e32 v46, vcc_lo, s9, v37, vcc_lo
	s_clause 0x3
	global_load_dwordx4 v[28:31], v[30:31], off offset:864
	global_load_dwordx4 v[32:35], v[32:33], off offset:16
	;; [unrolled: 1-line block ×4, first 2 shown]
	v_add_co_u32 v22, vcc_lo, 0x1000, v20
	v_add_co_ci_u32_e32 v23, vcc_lo, 0, v46, vcc_lo
	v_add_co_u32 v56, vcc_lo, 0x1360, v20
	v_add_co_ci_u32_e32 v57, vcc_lo, 0, v46, vcc_lo
	s_clause 0x3
	global_load_dwordx4 v[44:47], v[44:45], off offset:864
	global_load_dwordx4 v[48:51], v[48:49], off offset:16
	;; [unrolled: 1-line block ×4, first 2 shown]
	v_add_nc_u32_e32 v20, 0x1000, v86
	v_add_co_u32 v110, vcc_lo, s2, v62
	ds_read2_b64 v[64:67], v86 offset0:78 offset1:156
	ds_read_b64 v[22:23], v86 offset:6864
	ds_read_b64 v[80:81], v61
	v_mov_b32_e32 v61, v21
	v_add_co_ci_u32_e32 v111, vcc_lo, s3, v63, vcc_lo
	v_lshrrev_b32_e32 v62, 3, v85
	v_lshrrev_b32_e32 v63, 3, v84
	ds_read2_b64 v[68:71], v20 offset0:34 offset1:112
	ds_read2_b64 v[72:75], v72 offset0:106 offset1:184
	v_lshlrev_b64 v[82:83], 4, v[60:61]
	v_mul_hi_u32 v20, 0x1a41a41b, v62
	v_mul_hi_u32 v86, 0x1a41a41b, v63
	ds_read2_b64 v[60:63], v76 offset0:134 offset1:212
	ds_read2_b64 v[76:79], v77 offset0:62 offset1:140
	v_add_co_u32 v82, vcc_lo, v110, v82
	v_add_co_ci_u32_e32 v83, vcc_lo, v111, v83, vcc_lo
	v_lshrrev_b32_e32 v20, 2, v20
	v_lshrrev_b32_e32 v112, 2, v86
	v_add_co_u32 v86, vcc_lo, 0x1000, v82
	v_add_co_ci_u32_e32 v87, vcc_lo, 0, v83, vcc_lo
	v_mad_u32_u24 v20, 0x270, v20, v85
	v_add_co_u32 v88, vcc_lo, 0x2000, v82
	v_add_co_ci_u32_e32 v89, vcc_lo, 0, v83, vcc_lo
	v_lshlrev_b64 v[108:109], 4, v[20:21]
	v_mad_u32_u24 v20, 0x270, v112, v84
	v_add_co_u32 v106, vcc_lo, 0x1800, v82
	v_add_co_ci_u32_e32 v107, vcc_lo, 0, v83, vcc_lo
	v_lshlrev_b64 v[20:21], 4, v[20:21]
	s_waitcnt vmcnt(7) lgkmcnt(3)
	v_mul_f64 v[94:95], v[68:69], v[30:31]
	s_waitcnt vmcnt(5) lgkmcnt(2)
	v_mul_f64 v[90:91], v[74:75], v[38:39]
	s_waitcnt vmcnt(4)
	v_mul_f64 v[92:93], v[70:71], v[42:43]
	v_mul_f64 v[38:39], v[6:7], v[38:39]
	;; [unrolled: 1-line block ×6, first 2 shown]
	s_waitcnt vmcnt(3)
	v_mul_f64 v[98:99], v[10:11], v[46:47]
	s_waitcnt vmcnt(2)
	v_mul_f64 v[100:101], v[14:15], v[50:51]
	s_waitcnt vmcnt(1) lgkmcnt(1)
	v_mul_f64 v[102:103], v[60:61], v[54:55]
	s_waitcnt vmcnt(0) lgkmcnt(0)
	v_mul_f64 v[104:105], v[76:77], v[58:59]
	v_mul_f64 v[54:55], v[8:9], v[54:55]
	;; [unrolled: 1-line block ×5, first 2 shown]
	v_fma_f64 v[16:17], v[16:17], v[28:29], -v[94:95]
	v_fma_f64 v[6:7], v[6:7], v[36:37], -v[90:91]
	;; [unrolled: 1-line block ×3, first 2 shown]
	v_fma_f64 v[36:37], v[36:37], v[74:75], v[38:39]
	v_fma_f64 v[38:39], v[40:41], v[70:71], v[42:43]
	v_fma_f64 v[26:27], v[26:27], v[32:33], -v[96:97]
	v_fma_f64 v[28:29], v[28:29], v[68:69], v[30:31]
	v_fma_f64 v[22:23], v[32:33], v[22:23], v[34:35]
	;; [unrolled: 1-line block ×4, first 2 shown]
	v_fma_f64 v[8:9], v[8:9], v[52:53], -v[102:103]
	v_fma_f64 v[12:13], v[12:13], v[56:57], -v[104:105]
	v_fma_f64 v[34:35], v[52:53], v[60:61], v[54:55]
	v_fma_f64 v[40:41], v[56:57], v[76:77], v[58:59]
	v_fma_f64 v[10:11], v[10:11], v[44:45], -v[46:47]
	v_fma_f64 v[14:15], v[14:15], v[48:49], -v[50:51]
	v_add_co_u32 v52, vcc_lo, 0x2800, v82
	v_add_co_ci_u32_e32 v53, vcc_lo, 0, v83, vcc_lo
	v_add_co_u32 v48, vcc_lo, v110, v108
	v_add_co_ci_u32_e32 v49, vcc_lo, v111, v109, vcc_lo
	v_add_f64 v[46:47], v[6:7], v[18:19]
	v_add_f64 v[44:45], v[6:7], -v[18:19]
	v_add_f64 v[42:43], v[36:37], v[38:39]
	v_add_f64 v[56:57], v[16:17], v[26:27]
	;; [unrolled: 1-line block ×12, first 2 shown]
	v_add_f64 v[36:37], v[36:37], -v[38:39]
	v_add_f64 v[74:75], v[28:29], v[72:73]
	v_add_f64 v[70:71], v[16:17], -v[26:27]
	v_add_f64 v[16:17], v[4:5], v[16:17]
	v_add_f64 v[92:93], v[8:9], -v[12:13]
	v_add_f64 v[84:85], v[30:31], v[66:67]
	v_add_f64 v[78:79], v[10:11], -v[14:15]
	v_add_f64 v[28:29], v[28:29], -v[22:23]
	v_fma_f64 v[24:25], v[46:47], -0.5, v[24:25]
	v_add_co_u32 v50, vcc_lo, 0x1000, v48
	v_fma_f64 v[42:43], v[42:43], -0.5, v[80:81]
	v_add_f64 v[80:81], v[34:35], -v[40:41]
	v_fma_f64 v[34:35], v[54:55], -0.5, v[72:73]
	v_fma_f64 v[54:55], v[56:57], -0.5, v[4:5]
	;; [unrolled: 1-line block ×3, first 2 shown]
	v_add_co_ci_u32_e32 v51, vcc_lo, 0, v49, vcc_lo
	v_fma_f64 v[58:59], v[62:63], -0.5, v[0:1]
	v_fma_f64 v[56:57], v[60:61], -0.5, v[64:65]
	v_add_f64 v[62:63], v[30:31], -v[32:33]
	v_fma_f64 v[64:65], v[76:77], -0.5, v[2:3]
	v_add_co_u32 v60, vcc_lo, v110, v20
	v_add_f64 v[2:3], v[68:69], v[38:39]
	v_add_f64 v[0:1], v[6:7], v[18:19]
	;; [unrolled: 1-line block ×5, first 2 shown]
	v_add_co_ci_u32_e32 v61, vcc_lo, v111, v21, vcc_lo
	v_add_f64 v[6:7], v[22:23], v[74:75]
	v_fma_f64 v[20:21], v[36:37], s[0:1], v[24:25]
	v_fma_f64 v[22:23], v[44:45], s[4:5], v[42:43]
	v_add_f64 v[4:5], v[16:17], v[26:27]
	v_fma_f64 v[18:19], v[44:45], s[0:1], v[42:43]
	v_fma_f64 v[16:17], v[36:37], s[4:5], v[24:25]
	;; [unrolled: 3-line block ×3, first 2 shown]
	v_fma_f64 v[40:41], v[80:81], s[0:1], v[58:59]
	v_fma_f64 v[42:43], v[92:93], s[4:5], v[56:57]
	;; [unrolled: 1-line block ×10, first 2 shown]
	v_add_co_u32 v54, vcc_lo, 0x2000, v48
	v_add_co_ci_u32_e32 v55, vcc_lo, 0, v49, vcc_lo
	v_add_co_u32 v56, vcc_lo, 0x1000, v60
	v_add_co_ci_u32_e32 v57, vcc_lo, 0, v61, vcc_lo
	;; [unrolled: 2-line block ×3, first 2 shown]
	global_store_dwordx4 v[82:83], v[0:3], off
	global_store_dwordx4 v[82:83], v[12:15], off offset:1248
	global_store_dwordx4 v[86:87], v[20:23], off offset:896
	;; [unrolled: 1-line block ×5, first 2 shown]
	global_store_dwordx4 v[48:49], v[8:11], off
	global_store_dwordx4 v[50:51], v[44:47], off offset:896
	global_store_dwordx4 v[54:55], v[32:35], off offset:1792
	global_store_dwordx4 v[60:61], v[4:7], off
	global_store_dwordx4 v[56:57], v[28:31], off offset:896
	global_store_dwordx4 v[58:59], v[24:27], off offset:1792
.LBB0_20:
	s_endpgm
	.section	.rodata,"a",@progbits
	.p2align	6, 0x0
	.amdhsa_kernel fft_rtc_fwd_len936_factors_2_2_13_2_3_3_wgs_234_tpt_78_halfLds_dp_ip_CI_unitstride_sbrr_dirReg
		.amdhsa_group_segment_fixed_size 0
		.amdhsa_private_segment_fixed_size 0
		.amdhsa_kernarg_size 88
		.amdhsa_user_sgpr_count 6
		.amdhsa_user_sgpr_private_segment_buffer 1
		.amdhsa_user_sgpr_dispatch_ptr 0
		.amdhsa_user_sgpr_queue_ptr 0
		.amdhsa_user_sgpr_kernarg_segment_ptr 1
		.amdhsa_user_sgpr_dispatch_id 0
		.amdhsa_user_sgpr_flat_scratch_init 0
		.amdhsa_user_sgpr_private_segment_size 0
		.amdhsa_wavefront_size32 1
		.amdhsa_uses_dynamic_stack 0
		.amdhsa_system_sgpr_private_segment_wavefront_offset 0
		.amdhsa_system_sgpr_workgroup_id_x 1
		.amdhsa_system_sgpr_workgroup_id_y 0
		.amdhsa_system_sgpr_workgroup_id_z 0
		.amdhsa_system_sgpr_workgroup_info 0
		.amdhsa_system_vgpr_workitem_id 0
		.amdhsa_next_free_vgpr 180
		.amdhsa_next_free_sgpr 42
		.amdhsa_reserve_vcc 1
		.amdhsa_reserve_flat_scratch 0
		.amdhsa_float_round_mode_32 0
		.amdhsa_float_round_mode_16_64 0
		.amdhsa_float_denorm_mode_32 3
		.amdhsa_float_denorm_mode_16_64 3
		.amdhsa_dx10_clamp 1
		.amdhsa_ieee_mode 1
		.amdhsa_fp16_overflow 0
		.amdhsa_workgroup_processor_mode 1
		.amdhsa_memory_ordered 1
		.amdhsa_forward_progress 0
		.amdhsa_shared_vgpr_count 0
		.amdhsa_exception_fp_ieee_invalid_op 0
		.amdhsa_exception_fp_denorm_src 0
		.amdhsa_exception_fp_ieee_div_zero 0
		.amdhsa_exception_fp_ieee_overflow 0
		.amdhsa_exception_fp_ieee_underflow 0
		.amdhsa_exception_fp_ieee_inexact 0
		.amdhsa_exception_int_div_zero 0
	.end_amdhsa_kernel
	.text
.Lfunc_end0:
	.size	fft_rtc_fwd_len936_factors_2_2_13_2_3_3_wgs_234_tpt_78_halfLds_dp_ip_CI_unitstride_sbrr_dirReg, .Lfunc_end0-fft_rtc_fwd_len936_factors_2_2_13_2_3_3_wgs_234_tpt_78_halfLds_dp_ip_CI_unitstride_sbrr_dirReg
                                        ; -- End function
	.section	.AMDGPU.csdata,"",@progbits
; Kernel info:
; codeLenInByte = 11636
; NumSgprs: 44
; NumVgprs: 180
; ScratchSize: 0
; MemoryBound: 1
; FloatMode: 240
; IeeeMode: 1
; LDSByteSize: 0 bytes/workgroup (compile time only)
; SGPRBlocks: 5
; VGPRBlocks: 22
; NumSGPRsForWavesPerEU: 44
; NumVGPRsForWavesPerEU: 180
; Occupancy: 5
; WaveLimiterHint : 1
; COMPUTE_PGM_RSRC2:SCRATCH_EN: 0
; COMPUTE_PGM_RSRC2:USER_SGPR: 6
; COMPUTE_PGM_RSRC2:TRAP_HANDLER: 0
; COMPUTE_PGM_RSRC2:TGID_X_EN: 1
; COMPUTE_PGM_RSRC2:TGID_Y_EN: 0
; COMPUTE_PGM_RSRC2:TGID_Z_EN: 0
; COMPUTE_PGM_RSRC2:TIDIG_COMP_CNT: 0
	.text
	.p2alignl 6, 3214868480
	.fill 48, 4, 3214868480
	.type	__hip_cuid_372975d5789e1559,@object ; @__hip_cuid_372975d5789e1559
	.section	.bss,"aw",@nobits
	.globl	__hip_cuid_372975d5789e1559
__hip_cuid_372975d5789e1559:
	.byte	0                               ; 0x0
	.size	__hip_cuid_372975d5789e1559, 1

	.ident	"AMD clang version 19.0.0git (https://github.com/RadeonOpenCompute/llvm-project roc-6.4.0 25133 c7fe45cf4b819c5991fe208aaa96edf142730f1d)"
	.section	".note.GNU-stack","",@progbits
	.addrsig
	.addrsig_sym __hip_cuid_372975d5789e1559
	.amdgpu_metadata
---
amdhsa.kernels:
  - .args:
      - .actual_access:  read_only
        .address_space:  global
        .offset:         0
        .size:           8
        .value_kind:     global_buffer
      - .offset:         8
        .size:           8
        .value_kind:     by_value
      - .actual_access:  read_only
        .address_space:  global
        .offset:         16
        .size:           8
        .value_kind:     global_buffer
      - .actual_access:  read_only
        .address_space:  global
        .offset:         24
        .size:           8
        .value_kind:     global_buffer
      - .offset:         32
        .size:           8
        .value_kind:     by_value
      - .actual_access:  read_only
        .address_space:  global
        .offset:         40
        .size:           8
        .value_kind:     global_buffer
      - .actual_access:  read_only
        .address_space:  global
        .offset:         48
        .size:           8
        .value_kind:     global_buffer
      - .offset:         56
        .size:           4
        .value_kind:     by_value
      - .actual_access:  read_only
        .address_space:  global
        .offset:         64
        .size:           8
        .value_kind:     global_buffer
      - .actual_access:  read_only
        .address_space:  global
        .offset:         72
        .size:           8
        .value_kind:     global_buffer
      - .address_space:  global
        .offset:         80
        .size:           8
        .value_kind:     global_buffer
    .group_segment_fixed_size: 0
    .kernarg_segment_align: 8
    .kernarg_segment_size: 88
    .language:       OpenCL C
    .language_version:
      - 2
      - 0
    .max_flat_workgroup_size: 234
    .name:           fft_rtc_fwd_len936_factors_2_2_13_2_3_3_wgs_234_tpt_78_halfLds_dp_ip_CI_unitstride_sbrr_dirReg
    .private_segment_fixed_size: 0
    .sgpr_count:     44
    .sgpr_spill_count: 0
    .symbol:         fft_rtc_fwd_len936_factors_2_2_13_2_3_3_wgs_234_tpt_78_halfLds_dp_ip_CI_unitstride_sbrr_dirReg.kd
    .uniform_work_group_size: 1
    .uses_dynamic_stack: false
    .vgpr_count:     180
    .vgpr_spill_count: 0
    .wavefront_size: 32
    .workgroup_processor_mode: 1
amdhsa.target:   amdgcn-amd-amdhsa--gfx1030
amdhsa.version:
  - 1
  - 2
...

	.end_amdgpu_metadata
